;; amdgpu-corpus repo=ROCm/rocFFT kind=compiled arch=gfx1030 opt=O3
	.text
	.amdgcn_target "amdgcn-amd-amdhsa--gfx1030"
	.amdhsa_code_object_version 6
	.protected	fft_rtc_back_len1100_factors_2_2_11_5_5_wgs_110_tpt_110_dp_op_CI_CI_unitstride_sbrr_R2C_dirReg ; -- Begin function fft_rtc_back_len1100_factors_2_2_11_5_5_wgs_110_tpt_110_dp_op_CI_CI_unitstride_sbrr_R2C_dirReg
	.globl	fft_rtc_back_len1100_factors_2_2_11_5_5_wgs_110_tpt_110_dp_op_CI_CI_unitstride_sbrr_R2C_dirReg
	.p2align	8
	.type	fft_rtc_back_len1100_factors_2_2_11_5_5_wgs_110_tpt_110_dp_op_CI_CI_unitstride_sbrr_R2C_dirReg,@function
fft_rtc_back_len1100_factors_2_2_11_5_5_wgs_110_tpt_110_dp_op_CI_CI_unitstride_sbrr_R2C_dirReg: ; @fft_rtc_back_len1100_factors_2_2_11_5_5_wgs_110_tpt_110_dp_op_CI_CI_unitstride_sbrr_R2C_dirReg
; %bb.0:
	s_clause 0x2
	s_load_dwordx4 s[12:15], s[4:5], 0x0
	s_load_dwordx4 s[8:11], s[4:5], 0x58
	;; [unrolled: 1-line block ×3, first 2 shown]
	v_mul_u32_u24_e32 v1, 0x254, v0
	v_mov_b32_e32 v3, 0
	v_add_nc_u32_sdwa v5, s6, v1 dst_sel:DWORD dst_unused:UNUSED_PAD src0_sel:DWORD src1_sel:WORD_1
	v_mov_b32_e32 v1, 0
	v_mov_b32_e32 v6, v3
	v_mov_b32_e32 v2, 0
	s_waitcnt lgkmcnt(0)
	v_cmp_lt_u64_e64 s0, s[14:15], 2
	s_and_b32 vcc_lo, exec_lo, s0
	s_cbranch_vccnz .LBB0_8
; %bb.1:
	s_load_dwordx2 s[0:1], s[4:5], 0x10
	v_mov_b32_e32 v1, 0
	v_mov_b32_e32 v2, 0
	s_add_u32 s2, s18, 8
	s_addc_u32 s3, s19, 0
	s_add_u32 s6, s16, 8
	s_addc_u32 s7, s17, 0
	v_mov_b32_e32 v53, v2
	v_mov_b32_e32 v52, v1
	s_mov_b64 s[22:23], 1
	s_waitcnt lgkmcnt(0)
	s_add_u32 s20, s0, 8
	s_addc_u32 s21, s1, 0
.LBB0_2:                                ; =>This Inner Loop Header: Depth=1
	s_load_dwordx2 s[24:25], s[20:21], 0x0
                                        ; implicit-def: $vgpr56_vgpr57
	s_mov_b32 s0, exec_lo
	s_waitcnt lgkmcnt(0)
	v_or_b32_e32 v4, s25, v6
	v_cmpx_ne_u64_e32 0, v[3:4]
	s_xor_b32 s1, exec_lo, s0
	s_cbranch_execz .LBB0_4
; %bb.3:                                ;   in Loop: Header=BB0_2 Depth=1
	v_cvt_f32_u32_e32 v4, s24
	v_cvt_f32_u32_e32 v7, s25
	s_sub_u32 s0, 0, s24
	s_subb_u32 s26, 0, s25
	v_fmac_f32_e32 v4, 0x4f800000, v7
	v_rcp_f32_e32 v4, v4
	v_mul_f32_e32 v4, 0x5f7ffffc, v4
	v_mul_f32_e32 v7, 0x2f800000, v4
	v_trunc_f32_e32 v7, v7
	v_fmac_f32_e32 v4, 0xcf800000, v7
	v_cvt_u32_f32_e32 v7, v7
	v_cvt_u32_f32_e32 v4, v4
	v_mul_lo_u32 v8, s0, v7
	v_mul_hi_u32 v9, s0, v4
	v_mul_lo_u32 v10, s26, v4
	v_add_nc_u32_e32 v8, v9, v8
	v_mul_lo_u32 v9, s0, v4
	v_add_nc_u32_e32 v8, v8, v10
	v_mul_hi_u32 v10, v4, v9
	v_mul_lo_u32 v11, v4, v8
	v_mul_hi_u32 v12, v4, v8
	v_mul_hi_u32 v13, v7, v9
	v_mul_lo_u32 v9, v7, v9
	v_mul_hi_u32 v14, v7, v8
	v_mul_lo_u32 v8, v7, v8
	v_add_co_u32 v10, vcc_lo, v10, v11
	v_add_co_ci_u32_e32 v11, vcc_lo, 0, v12, vcc_lo
	v_add_co_u32 v9, vcc_lo, v10, v9
	v_add_co_ci_u32_e32 v9, vcc_lo, v11, v13, vcc_lo
	v_add_co_ci_u32_e32 v10, vcc_lo, 0, v14, vcc_lo
	v_add_co_u32 v8, vcc_lo, v9, v8
	v_add_co_ci_u32_e32 v9, vcc_lo, 0, v10, vcc_lo
	v_add_co_u32 v4, vcc_lo, v4, v8
	v_add_co_ci_u32_e32 v7, vcc_lo, v7, v9, vcc_lo
	v_mul_hi_u32 v8, s0, v4
	v_mul_lo_u32 v10, s26, v4
	v_mul_lo_u32 v9, s0, v7
	v_add_nc_u32_e32 v8, v8, v9
	v_mul_lo_u32 v9, s0, v4
	v_add_nc_u32_e32 v8, v8, v10
	v_mul_hi_u32 v10, v4, v9
	v_mul_lo_u32 v11, v4, v8
	v_mul_hi_u32 v12, v4, v8
	v_mul_hi_u32 v13, v7, v9
	v_mul_lo_u32 v9, v7, v9
	v_mul_hi_u32 v14, v7, v8
	v_mul_lo_u32 v8, v7, v8
	v_add_co_u32 v10, vcc_lo, v10, v11
	v_add_co_ci_u32_e32 v11, vcc_lo, 0, v12, vcc_lo
	v_add_co_u32 v9, vcc_lo, v10, v9
	v_add_co_ci_u32_e32 v9, vcc_lo, v11, v13, vcc_lo
	v_add_co_ci_u32_e32 v10, vcc_lo, 0, v14, vcc_lo
	v_add_co_u32 v8, vcc_lo, v9, v8
	v_add_co_ci_u32_e32 v9, vcc_lo, 0, v10, vcc_lo
	v_add_co_u32 v4, vcc_lo, v4, v8
	v_add_co_ci_u32_e32 v11, vcc_lo, v7, v9, vcc_lo
	v_mul_hi_u32 v13, v5, v4
	v_mad_u64_u32 v[9:10], null, v6, v4, 0
	v_mad_u64_u32 v[7:8], null, v5, v11, 0
	;; [unrolled: 1-line block ×3, first 2 shown]
	v_add_co_u32 v4, vcc_lo, v13, v7
	v_add_co_ci_u32_e32 v7, vcc_lo, 0, v8, vcc_lo
	v_add_co_u32 v4, vcc_lo, v4, v9
	v_add_co_ci_u32_e32 v4, vcc_lo, v7, v10, vcc_lo
	v_add_co_ci_u32_e32 v7, vcc_lo, 0, v12, vcc_lo
	v_add_co_u32 v4, vcc_lo, v4, v11
	v_add_co_ci_u32_e32 v9, vcc_lo, 0, v7, vcc_lo
	v_mul_lo_u32 v10, s25, v4
	v_mad_u64_u32 v[7:8], null, s24, v4, 0
	v_mul_lo_u32 v11, s24, v9
	v_sub_co_u32 v7, vcc_lo, v5, v7
	v_add3_u32 v8, v8, v11, v10
	v_sub_nc_u32_e32 v10, v6, v8
	v_subrev_co_ci_u32_e64 v10, s0, s25, v10, vcc_lo
	v_add_co_u32 v11, s0, v4, 2
	v_add_co_ci_u32_e64 v12, s0, 0, v9, s0
	v_sub_co_u32 v13, s0, v7, s24
	v_sub_co_ci_u32_e32 v8, vcc_lo, v6, v8, vcc_lo
	v_subrev_co_ci_u32_e64 v10, s0, 0, v10, s0
	v_cmp_le_u32_e32 vcc_lo, s24, v13
	v_cmp_eq_u32_e64 s0, s25, v8
	v_cndmask_b32_e64 v13, 0, -1, vcc_lo
	v_cmp_le_u32_e32 vcc_lo, s25, v10
	v_cndmask_b32_e64 v14, 0, -1, vcc_lo
	v_cmp_le_u32_e32 vcc_lo, s24, v7
	;; [unrolled: 2-line block ×3, first 2 shown]
	v_cndmask_b32_e64 v15, 0, -1, vcc_lo
	v_cmp_eq_u32_e32 vcc_lo, s25, v10
	v_cndmask_b32_e64 v7, v15, v7, s0
	v_cndmask_b32_e32 v10, v14, v13, vcc_lo
	v_add_co_u32 v13, vcc_lo, v4, 1
	v_add_co_ci_u32_e32 v14, vcc_lo, 0, v9, vcc_lo
	v_cmp_ne_u32_e32 vcc_lo, 0, v10
	v_cndmask_b32_e32 v8, v14, v12, vcc_lo
	v_cndmask_b32_e32 v10, v13, v11, vcc_lo
	v_cmp_ne_u32_e32 vcc_lo, 0, v7
	v_cndmask_b32_e32 v57, v9, v8, vcc_lo
	v_cndmask_b32_e32 v56, v4, v10, vcc_lo
.LBB0_4:                                ;   in Loop: Header=BB0_2 Depth=1
	s_andn2_saveexec_b32 s0, s1
	s_cbranch_execz .LBB0_6
; %bb.5:                                ;   in Loop: Header=BB0_2 Depth=1
	v_cvt_f32_u32_e32 v4, s24
	s_sub_i32 s1, 0, s24
	v_mov_b32_e32 v57, v3
	v_rcp_iflag_f32_e32 v4, v4
	v_mul_f32_e32 v4, 0x4f7ffffe, v4
	v_cvt_u32_f32_e32 v4, v4
	v_mul_lo_u32 v7, s1, v4
	v_mul_hi_u32 v7, v4, v7
	v_add_nc_u32_e32 v4, v4, v7
	v_mul_hi_u32 v4, v5, v4
	v_mul_lo_u32 v7, v4, s24
	v_add_nc_u32_e32 v8, 1, v4
	v_sub_nc_u32_e32 v7, v5, v7
	v_subrev_nc_u32_e32 v9, s24, v7
	v_cmp_le_u32_e32 vcc_lo, s24, v7
	v_cndmask_b32_e32 v7, v7, v9, vcc_lo
	v_cndmask_b32_e32 v4, v4, v8, vcc_lo
	v_cmp_le_u32_e32 vcc_lo, s24, v7
	v_add_nc_u32_e32 v8, 1, v4
	v_cndmask_b32_e32 v56, v4, v8, vcc_lo
.LBB0_6:                                ;   in Loop: Header=BB0_2 Depth=1
	s_or_b32 exec_lo, exec_lo, s0
	v_mul_lo_u32 v4, v57, s24
	v_mul_lo_u32 v9, v56, s25
	s_load_dwordx2 s[0:1], s[6:7], 0x0
	v_mad_u64_u32 v[7:8], null, v56, s24, 0
	s_load_dwordx2 s[24:25], s[2:3], 0x0
	s_add_u32 s22, s22, 1
	s_addc_u32 s23, s23, 0
	s_add_u32 s2, s2, 8
	s_addc_u32 s3, s3, 0
	s_add_u32 s6, s6, 8
	v_add3_u32 v4, v8, v9, v4
	v_sub_co_u32 v5, vcc_lo, v5, v7
	s_addc_u32 s7, s7, 0
	s_add_u32 s20, s20, 8
	v_sub_co_ci_u32_e32 v4, vcc_lo, v6, v4, vcc_lo
	s_addc_u32 s21, s21, 0
	s_waitcnt lgkmcnt(0)
	v_mul_lo_u32 v6, s0, v4
	v_mul_lo_u32 v7, s1, v5
	v_mad_u64_u32 v[1:2], null, s0, v5, v[1:2]
	v_mul_lo_u32 v4, s24, v4
	v_mul_lo_u32 v8, s25, v5
	v_mad_u64_u32 v[52:53], null, s24, v5, v[52:53]
	v_cmp_ge_u64_e64 s0, s[22:23], s[14:15]
	v_add3_u32 v2, v7, v2, v6
	v_add3_u32 v53, v8, v53, v4
	s_and_b32 vcc_lo, exec_lo, s0
	s_cbranch_vccnz .LBB0_9
; %bb.7:                                ;   in Loop: Header=BB0_2 Depth=1
	v_mov_b32_e32 v5, v56
	v_mov_b32_e32 v6, v57
	s_branch .LBB0_2
.LBB0_8:
	v_mov_b32_e32 v53, v2
	v_mov_b32_e32 v57, v6
	;; [unrolled: 1-line block ×4, first 2 shown]
.LBB0_9:
	s_load_dwordx2 s[0:1], s[4:5], 0x28
	v_mul_hi_u32 v3, 0x253c826, v0
	s_lshl_b64 s[4:5], s[14:15], 3
                                        ; implicit-def: $vgpr54
                                        ; implicit-def: $vgpr58
                                        ; implicit-def: $vgpr62
                                        ; implicit-def: $vgpr61
                                        ; implicit-def: $vgpr60
	s_add_u32 s2, s18, s4
	s_addc_u32 s3, s19, s5
	s_waitcnt lgkmcnt(0)
	v_cmp_gt_u64_e32 vcc_lo, s[0:1], v[56:57]
	v_cmp_le_u64_e64 s0, s[0:1], v[56:57]
	s_and_saveexec_b32 s1, s0
	s_xor_b32 s0, exec_lo, s1
; %bb.10:
	v_mul_u32_u24_e32 v1, 0x6e, v3
                                        ; implicit-def: $vgpr3
	v_sub_nc_u32_e32 v54, v0, v1
                                        ; implicit-def: $vgpr0
                                        ; implicit-def: $vgpr1_vgpr2
	v_add_nc_u32_e32 v58, 0x6e, v54
	v_add_nc_u32_e32 v62, 0xdc, v54
	;; [unrolled: 1-line block ×4, first 2 shown]
; %bb.11:
	s_andn2_saveexec_b32 s1, s0
	s_cbranch_execz .LBB0_13
; %bb.12:
	s_add_u32 s4, s16, s4
	s_addc_u32 s5, s17, s5
	v_lshlrev_b64 v[1:2], 4, v[1:2]
	s_load_dwordx2 s[4:5], s[4:5], 0x0
	s_waitcnt lgkmcnt(0)
	v_mul_lo_u32 v6, s5, v56
	v_mul_lo_u32 v7, s4, v57
	v_mad_u64_u32 v[4:5], null, s4, v56, 0
	v_add3_u32 v5, v5, v7, v6
	v_mul_u32_u24_e32 v6, 0x6e, v3
	v_lshlrev_b64 v[3:4], 4, v[4:5]
	v_sub_nc_u32_e32 v54, v0, v6
	v_lshlrev_b32_e32 v40, 4, v54
	v_add_co_u32 v0, s0, s8, v3
	v_add_co_ci_u32_e64 v3, s0, s9, v4, s0
	v_add_nc_u32_e32 v58, 0x6e, v54
	v_add_co_u32 v0, s0, v0, v1
	v_add_co_ci_u32_e64 v1, s0, v3, v2, s0
	v_add_nc_u32_e32 v62, 0xdc, v54
	v_add_co_u32 v8, s0, v0, v40
	v_add_co_ci_u32_e64 v9, s0, 0, v1, s0
	s_clause 0x1
	global_load_dwordx4 v[0:3], v[8:9], off
	global_load_dwordx4 v[4:7], v[8:9], off offset:1760
	v_add_co_u32 v10, s0, 0x800, v8
	v_add_co_ci_u32_e64 v11, s0, 0, v9, s0
	v_add_co_u32 v12, s0, 0x1000, v8
	v_add_co_ci_u32_e64 v13, s0, 0, v9, s0
	;; [unrolled: 2-line block ×7, first 2 shown]
	s_clause 0x7
	global_load_dwordx4 v[8:11], v[10:11], off offset:1472
	global_load_dwordx4 v[12:15], v[12:13], off offset:1184
	global_load_dwordx4 v[16:19], v[16:17], off offset:896
	global_load_dwordx4 v[20:23], v[20:21], off offset:608
	global_load_dwordx4 v[24:27], v[24:25], off offset:320
	global_load_dwordx4 v[28:31], v[32:33], off offset:32
	global_load_dwordx4 v[32:35], v[32:33], off offset:1792
	global_load_dwordx4 v[36:39], v[36:37], off offset:1504
	v_add_nc_u32_e32 v40, 0, v40
	v_add_nc_u32_e32 v61, 0x14a, v54
	;; [unrolled: 1-line block ×3, first 2 shown]
	s_waitcnt vmcnt(9)
	ds_write_b128 v40, v[0:3]
	s_waitcnt vmcnt(8)
	ds_write_b128 v40, v[4:7] offset:1760
	s_waitcnt vmcnt(7)
	ds_write_b128 v40, v[8:11] offset:3520
	;; [unrolled: 2-line block ×9, first 2 shown]
.LBB0_13:
	s_or_b32 exec_lo, exec_lo, s1
	v_lshlrev_b32_e32 v55, 4, v54
	s_load_dwordx2 s[2:3], s[2:3], 0x0
	s_waitcnt lgkmcnt(0)
	s_barrier
	buffer_gl0_inv
	v_add_nc_u32_e32 v155, 0, v55
	v_and_b32_e32 v69, 1, v54
	v_lshl_add_u32 v157, v58, 5, 0
	v_lshl_add_u32 v158, v62, 5, 0
	;; [unrolled: 1-line block ×3, first 2 shown]
	ds_read_b128 v[0:3], v155 offset:8800
	ds_read_b128 v[4:7], v155
	ds_read_b128 v[8:11], v155 offset:1760
	ds_read_b128 v[12:15], v155 offset:10560
	;; [unrolled: 1-line block ×8, first 2 shown]
	v_add_nc_u32_e32 v40, v155, v55
	v_lshlrev_b32_e32 v41, 4, v69
	v_lshl_add_u32 v159, v60, 5, 0
	s_waitcnt lgkmcnt(0)
	s_barrier
	buffer_gl0_inv
	v_lshlrev_b32_e32 v59, 4, v61
	v_cmp_gt_u32_e64 s0, 0x64, v54
	v_sub_nc_u32_e32 v70, v156, v59
	v_add_f64 v[0:1], v[4:5], -v[0:1]
	v_add_f64 v[2:3], v[6:7], -v[2:3]
	;; [unrolled: 1-line block ×10, first 2 shown]
	v_fma_f64 v[4:5], v[4:5], 2.0, -v[0:1]
	v_fma_f64 v[6:7], v[6:7], 2.0, -v[2:3]
	;; [unrolled: 1-line block ×10, first 2 shown]
	ds_write_b128 v40, v[0:3] offset:16
	ds_write_b128 v157, v[12:15] offset:16
	;; [unrolled: 1-line block ×5, first 2 shown]
	ds_write_b128 v40, v[4:7]
	ds_write_b128 v157, v[8:11]
	;; [unrolled: 1-line block ×5, first 2 shown]
	s_waitcnt lgkmcnt(0)
	s_barrier
	buffer_gl0_inv
	global_load_dwordx4 v[0:3], v41, s[12:13]
	ds_read_b128 v[4:7], v155 offset:8800
	ds_read_b128 v[8:11], v155 offset:10560
	;; [unrolled: 1-line block ×5, first 2 shown]
	ds_read_b128 v[36:39], v155
	v_lshlrev_b32_e32 v12, 4, v58
	v_lshlrev_b32_e32 v13, 4, v62
	;; [unrolled: 1-line block ×3, first 2 shown]
	v_sub_nc_u32_e32 v35, v157, v12
	v_sub_nc_u32_e32 v44, v158, v13
	;; [unrolled: 1-line block ×3, first 2 shown]
	ds_read_b128 v[40:43], v35
	ds_read_b128 v[44:47], v44
	s_waitcnt vmcnt(0) lgkmcnt(7)
	v_mul_f64 v[27:28], v[6:7], v[2:3]
	v_mul_f64 v[29:30], v[4:5], v[2:3]
	s_waitcnt lgkmcnt(6)
	v_mul_f64 v[31:32], v[10:11], v[2:3]
	v_mul_f64 v[33:34], v[8:9], v[2:3]
	s_waitcnt lgkmcnt(5)
	;; [unrolled: 3-line block ×4, first 2 shown]
	v_mul_f64 v[67:68], v[25:26], v[2:3]
	v_mul_f64 v[2:3], v[23:24], v[2:3]
	v_fma_f64 v[4:5], v[4:5], v[0:1], v[27:28]
	v_fma_f64 v[6:7], v[6:7], v[0:1], -v[29:30]
	v_fma_f64 v[8:9], v[8:9], v[0:1], v[31:32]
	v_fma_f64 v[10:11], v[10:11], v[0:1], -v[33:34]
	;; [unrolled: 2-line block ×5, first 2 shown]
	ds_read_b128 v[15:18], v70
	ds_read_b128 v[48:51], v71
	v_lshlrev_b32_e32 v19, 1, v54
	v_lshlrev_b32_e32 v65, 1, v61
	;; [unrolled: 1-line block ×3, first 2 shown]
	s_waitcnt lgkmcnt(0)
	s_barrier
	buffer_gl0_inv
	v_add_f64 v[20:21], v[36:37], -v[4:5]
	v_add_f64 v[22:23], v[38:39], -v[6:7]
	;; [unrolled: 1-line block ×10, first 2 shown]
	v_lshlrev_b32_e32 v63, 1, v58
	v_lshlrev_b32_e32 v64, 1, v62
	v_fma_f64 v[0:1], v[36:37], 2.0, -v[20:21]
	v_fma_f64 v[2:3], v[38:39], 2.0, -v[22:23]
	;; [unrolled: 1-line block ×10, first 2 shown]
	v_and_or_b32 v15, 0xfc, v19, v69
	v_and_or_b32 v16, 0x1fc, v63, v69
	;; [unrolled: 1-line block ×5, first 2 shown]
	v_lshl_add_u32 v15, v15, 4, 0
	v_lshl_add_u32 v16, v16, 4, 0
	;; [unrolled: 1-line block ×5, first 2 shown]
	ds_write_b128 v15, v[20:23] offset:32
	ds_write_b128 v15, v[0:3]
	ds_write_b128 v16, v[8:11]
	ds_write_b128 v16, v[24:27] offset:32
	ds_write_b128 v17, v[36:39]
	ds_write_b128 v17, v[28:31] offset:32
	ds_write_b128 v18, v[40:43]
	ds_write_b128 v18, v[32:35] offset:32
	ds_write_b128 v19, v[44:47]
	ds_write_b128 v19, v[4:7] offset:32
	s_waitcnt lgkmcnt(0)
	s_barrier
	buffer_gl0_inv
                                        ; implicit-def: $vgpr50_vgpr51
	s_and_saveexec_b32 s1, s0
	s_cbranch_execz .LBB0_15
; %bb.14:
	ds_read_b128 v[0:3], v155
	ds_read_b128 v[20:23], v155 offset:1600
	ds_read_b128 v[8:11], v155 offset:3200
	;; [unrolled: 1-line block ×10, first 2 shown]
.LBB0_15:
	s_or_b32 exec_lo, exec_lo, s1
	v_sub_nc_u32_e32 v160, 0, v12
	v_sub_nc_u32_e32 v161, 0, v13
	;; [unrolled: 1-line block ×3, first 2 shown]
	s_waitcnt lgkmcnt(0)
	s_barrier
	buffer_gl0_inv
	s_and_saveexec_b32 s33, s0
	s_cbranch_execz .LBB0_17
; %bb.16:
	v_and_b32_e32 v163, 3, v54
	s_mov_b32 s9, 0x3fed1bb4
	s_mov_b32 s8, 0x8eee2c13
	;; [unrolled: 1-line block ×4, first 2 shown]
	v_mul_u32_u24_e32 v12, 10, v163
	s_mov_b32 s18, 0xf8bb580b
	s_mov_b32 s22, 0xfd768dbf
	;; [unrolled: 1-line block ×4, first 2 shown]
	v_lshlrev_b32_e32 v16, 4, v12
	s_mov_b32 s19, 0x3fe14ced
	s_mov_b32 s23, 0xbfd207e7
	;; [unrolled: 1-line block ×4, first 2 shown]
	s_clause 0x9
	global_load_dwordx4 v[63:66], v16, s[12:13] offset:96
	global_load_dwordx4 v[71:74], v16, s[12:13] offset:112
	;; [unrolled: 1-line block ×10, first 2 shown]
	s_mov_b32 s26, s18
	s_mov_b32 s30, s22
	;; [unrolled: 1-line block ×14, first 2 shown]
	s_waitcnt vmcnt(9)
	v_mul_f64 v[67:68], v[30:31], v[65:66]
	v_mul_f64 v[65:66], v[28:29], v[65:66]
	s_waitcnt vmcnt(8)
	v_mul_f64 v[75:76], v[42:43], v[73:74]
	v_mul_f64 v[73:74], v[40:41], v[73:74]
	;; [unrolled: 3-line block ×6, first 2 shown]
	v_mul_f64 v[105:106], v[22:23], v[87:88]
	v_mul_f64 v[107:108], v[50:51], v[91:92]
	;; [unrolled: 1-line block ×4, first 2 shown]
	v_fma_f64 v[67:68], v[28:29], v[63:64], v[67:68]
	v_fma_f64 v[69:70], v[30:31], v[63:64], -v[65:66]
	v_fma_f64 v[40:41], v[40:41], v[71:72], v[75:76]
	v_fma_f64 v[63:64], v[42:43], v[71:72], -v[73:74]
	;; [unrolled: 2-line block ×6, first 2 shown]
	v_fma_f64 v[28:29], v[20:21], v[85:86], v[105:106]
	v_fma_f64 v[20:21], v[48:49], v[89:90], v[107:108]
	s_waitcnt vmcnt(1)
	v_mul_f64 v[32:33], v[10:11], v[14:15]
	v_fma_f64 v[30:31], v[22:23], v[85:86], -v[87:88]
	v_fma_f64 v[22:23], v[50:51], v[89:90], -v[91:92]
	v_mul_f64 v[34:35], v[8:9], v[14:15]
	s_waitcnt vmcnt(0)
	v_mul_f64 v[14:15], v[6:7], v[18:19]
	v_mul_f64 v[18:19], v[4:5], v[18:19]
	v_add_f64 v[46:47], v[67:68], -v[40:41]
	v_add_f64 v[107:108], v[69:70], -v[63:64]
	v_add_f64 v[244:245], v[67:68], v[40:41]
	v_add_f64 v[42:43], v[75:76], -v[36:37]
	v_add_f64 v[83:84], v[77:78], -v[38:39]
	v_add_f64 v[73:74], v[77:78], v[38:39]
	v_add_f64 v[202:203], v[75:76], v[36:37]
	v_add_f64 v[48:49], v[81:82], -v[24:25]
	v_add_f64 v[85:86], v[79:80], -v[26:27]
	v_add_f64 v[87:88], v[0:1], v[28:29]
	v_add_f64 v[44:45], v[28:29], -v[20:21]
	v_fma_f64 v[109:110], v[8:9], v[12:13], v[32:33]
	v_add_f64 v[65:66], v[28:29], v[20:21]
	v_add_f64 v[8:9], v[30:31], -v[22:23]
	v_fma_f64 v[111:112], v[10:11], v[12:13], -v[34:35]
	v_add_f64 v[10:11], v[2:3], v[30:31]
	v_fma_f64 v[4:5], v[4:5], v[16:17], v[14:15]
	v_fma_f64 v[6:7], v[6:7], v[16:17], -v[18:19]
	v_add_f64 v[50:51], v[30:31], v[22:23]
	v_add_f64 v[34:35], v[69:70], v[63:64]
	;; [unrolled: 1-line block ×3, first 2 shown]
	v_mul_f64 v[16:17], v[46:47], s[8:9]
	v_mul_f64 v[115:116], v[107:108], s[8:9]
	;; [unrolled: 1-line block ×10, first 2 shown]
	s_mov_b32 s9, 0xbfed1bb4
	v_mul_f64 v[14:15], v[44:45], s[22:23]
	v_mul_f64 v[18:19], v[44:45], s[16:17]
	;; [unrolled: 1-line block ×10, first 2 shown]
	v_add_f64 v[117:118], v[10:11], v[111:112]
	v_mul_f64 v[10:11], v[46:47], s[16:17]
	v_mul_f64 v[129:130], v[48:49], s[30:31]
	v_mul_f64 v[131:132], v[48:49], s[6:7]
	v_mul_f64 v[48:49], v[44:45], s[8:9]
	v_mul_f64 v[133:134], v[8:9], s[8:9]
	v_mul_f64 v[123:124], v[42:43], s[26:27]
	v_mul_f64 v[125:126], v[42:43], s[28:29]
	v_mul_f64 v[127:128], v[42:43], s[16:17]
	v_fma_f64 v[42:43], v[73:74], s[4:5], v[12:13]
	v_fma_f64 v[44:45], v[73:74], s[4:5], -v[12:13]
	v_fma_f64 v[46:47], v[73:74], s[24:25], v[113:114]
	v_fma_f64 v[135:136], v[50:51], s[24:25], v[14:15]
	v_fma_f64 v[137:138], v[50:51], s[24:25], -v[14:15]
	v_fma_f64 v[139:140], v[50:51], s[14:15], v[18:19]
	v_fma_f64 v[141:142], v[50:51], s[14:15], -v[18:19]
	;; [unrolled: 2-line block ×4, first 2 shown]
	v_fma_f64 v[151:152], v[65:66], s[24:25], -v[32:33]
	v_fma_f64 v[153:154], v[65:66], s[24:25], v[32:33]
	v_fma_f64 v[164:165], v[65:66], s[14:15], -v[71:72]
	v_fma_f64 v[71:72], v[65:66], s[14:15], v[71:72]
	;; [unrolled: 2-line block ×4, first 2 shown]
	v_fma_f64 v[28:29], v[34:35], s[0:1], v[103:104]
	v_fma_f64 v[30:31], v[34:35], s[0:1], -v[103:104]
	v_fma_f64 v[32:33], v[34:35], s[4:5], v[16:17]
	v_fma_f64 v[18:19], v[34:35], s[4:5], -v[16:17]
	;; [unrolled: 2-line block ×6, first 2 shown]
	v_fma_f64 v[121:122], v[65:66], s[4:5], -v[133:134]
	v_fma_f64 v[48:49], v[73:74], s[24:25], -v[113:114]
	v_fma_f64 v[113:114], v[65:66], s[4:5], v[133:134]
	v_add_f64 v[87:88], v[87:88], v[109:110]
	v_fma_f64 v[50:51], v[73:74], s[20:21], v[123:124]
	v_fma_f64 v[65:66], v[73:74], s[20:21], -v[123:124]
	v_add_f64 v[123:124], v[2:3], v[135:136]
	v_add_f64 v[133:134], v[0:1], v[151:152]
	v_add_f64 v[135:136], v[2:3], v[137:138]
	v_add_f64 v[137:138], v[0:1], v[153:154]
	v_add_f64 v[139:140], v[2:3], v[139:140]
	v_add_f64 v[151:152], v[0:1], v[164:165]
	v_add_f64 v[141:142], v[2:3], v[141:142]
	v_add_f64 v[153:154], v[0:1], v[71:72]
	v_add_f64 v[143:144], v[2:3], v[143:144]
	v_add_f64 v[164:165], v[0:1], v[166:167]
	v_add_f64 v[145:146], v[2:3], v[145:146]
	v_add_f64 v[166:167], v[0:1], v[97:98]
	v_add_f64 v[147:148], v[2:3], v[147:148]
	v_add_f64 v[168:169], v[0:1], v[168:169]
	v_add_f64 v[149:150], v[2:3], v[149:150]
	v_add_f64 v[170:171], v[0:1], v[99:100]
	v_add_f64 v[172:173], v[2:3], v[103:104]
	v_add_f64 v[121:122], v[0:1], v[121:122]
	v_add_f64 v[119:120], v[2:3], v[119:120]
	v_add_f64 v[174:175], v[0:1], v[113:114]
	v_fma_f64 v[2:3], v[73:74], s[0:1], v[125:126]
	v_fma_f64 v[0:1], v[73:74], s[0:1], -v[125:126]
	v_fma_f64 v[71:72], v[73:74], s[14:15], v[127:128]
	v_fma_f64 v[73:74], v[73:74], s[14:15], -v[127:128]
	v_fma_f64 v[125:126], v[89:90], s[14:15], v[101:102]
	v_fma_f64 v[127:128], v[89:90], s[14:15], -v[101:102]
	v_add_f64 v[113:114], v[117:118], v[79:80]
	v_fma_f64 v[176:177], v[89:90], s[20:21], v[105:106]
	v_fma_f64 v[178:179], v[89:90], s[20:21], -v[105:106]
	v_fma_f64 v[180:181], v[89:90], s[4:5], v[91:92]
	v_fma_f64 v[182:183], v[89:90], s[4:5], -v[91:92]
	;; [unrolled: 2-line block ×4, first 2 shown]
	v_add_f64 v[117:118], v[87:88], v[81:82]
	v_add_f64 v[81:82], v[81:82], v[24:25]
	v_mul_f64 v[87:88], v[85:86], s[16:17]
	v_mul_f64 v[89:90], v[85:86], s[26:27]
	;; [unrolled: 1-line block ×6, first 2 shown]
	v_fma_f64 v[105:106], v[202:203], s[4:5], -v[93:94]
	v_fma_f64 v[101:102], v[202:203], s[4:5], v[93:94]
	v_add_f64 v[210:211], v[111:112], v[6:7]
	v_add_f64 v[111:112], v[111:112], -v[6:7]
	v_mul_f64 v[248:249], v[107:108], s[22:23]
	v_add_f64 v[77:78], v[113:114], v[77:78]
	v_mul_f64 v[246:247], v[107:108], s[18:19]
	v_add_f64 v[75:76], v[117:118], v[75:76]
	v_fma_f64 v[194:195], v[81:82], s[4:5], -v[95:96]
	v_fma_f64 v[129:130], v[81:82], s[14:15], -v[87:88]
	v_fma_f64 v[131:132], v[81:82], s[14:15], v[87:88]
	v_fma_f64 v[190:191], v[81:82], s[20:21], -v[89:90]
	v_fma_f64 v[192:193], v[81:82], s[20:21], v[89:90]
	v_fma_f64 v[196:197], v[81:82], s[4:5], v[95:96]
	v_fma_f64 v[99:100], v[81:82], s[24:25], -v[91:92]
	v_fma_f64 v[95:96], v[81:82], s[24:25], v[91:92]
	v_fma_f64 v[91:92], v[81:82], s[0:1], -v[85:86]
	v_fma_f64 v[198:199], v[81:82], s[0:1], v[85:86]
	v_mul_f64 v[81:82], v[83:84], s[22:23]
	v_mul_f64 v[85:86], v[83:84], s[26:27]
	v_fma_f64 v[83:84], v[202:203], s[0:1], v[103:104]
	v_mul_f64 v[113:114], v[111:112], s[18:19]
	v_mul_f64 v[117:118], v[111:112], s[28:29]
	;; [unrolled: 1-line block ×3, first 2 shown]
	v_add_f64 v[240:241], v[77:78], v[69:70]
	v_mul_f64 v[69:70], v[107:108], s[16:17]
	v_add_f64 v[242:243], v[75:76], v[67:68]
	v_mul_f64 v[67:68], v[107:108], s[6:7]
	v_fma_f64 v[75:76], v[244:245], s[20:21], -v[246:247]
	v_fma_f64 v[97:98], v[202:203], s[24:25], -v[81:82]
	v_fma_f64 v[93:94], v[202:203], s[24:25], v[81:82]
	v_fma_f64 v[87:88], v[202:203], s[20:21], -v[85:86]
	v_fma_f64 v[89:90], v[202:203], s[20:21], v[85:86]
	v_fma_f64 v[85:86], v[202:203], s[0:1], -v[103:104]
	v_fma_f64 v[81:82], v[202:203], s[14:15], -v[200:201]
	v_fma_f64 v[103:104], v[202:203], s[14:15], v[200:201]
	v_add_f64 v[200:201], v[109:110], -v[4:5]
	v_add_f64 v[109:110], v[109:110], v[4:5]
	v_fma_f64 v[107:108], v[244:245], s[14:15], v[69:70]
	v_fma_f64 v[77:78], v[244:245], s[14:15], -v[69:70]
	v_fma_f64 v[69:70], v[244:245], s[20:21], v[246:247]
	v_mul_f64 v[202:203], v[200:201], s[18:19]
	v_mul_f64 v[204:205], v[200:201], s[28:29]
	;; [unrolled: 1-line block ×5, first 2 shown]
	v_fma_f64 v[226:227], v[109:110], s[20:21], v[113:114]
	v_fma_f64 v[224:225], v[109:110], s[20:21], -v[113:114]
	v_fma_f64 v[230:231], v[109:110], s[0:1], v[117:118]
	v_fma_f64 v[228:229], v[109:110], s[0:1], -v[117:118]
	v_fma_f64 v[234:235], v[109:110], s[14:15], -v[222:223]
	v_fma_f64 v[222:223], v[109:110], s[14:15], v[222:223]
	v_fma_f64 v[113:114], v[244:245], s[0:1], v[67:68]
	v_fma_f64 v[117:118], v[244:245], s[0:1], -v[67:68]
	v_fma_f64 v[67:68], v[244:245], s[24:25], -v[248:249]
	v_fma_f64 v[212:213], v[210:211], s[20:21], v[202:203]
	v_fma_f64 v[202:203], v[210:211], s[20:21], -v[202:203]
	v_fma_f64 v[214:215], v[210:211], s[0:1], v[204:205]
	;; [unrolled: 2-line block ×5, first 2 shown]
	v_fma_f64 v[200:201], v[210:211], s[4:5], -v[200:201]
	v_mul_f64 v[210:211], v[111:112], s[30:31]
	v_mul_f64 v[111:112], v[111:112], s[8:9]
	v_add_f64 v[137:138], v[226:227], v[137:138]
	v_add_f64 v[133:134], v[224:225], v[133:134]
	;; [unrolled: 1-line block ×13, first 2 shown]
	v_fma_f64 v[232:233], v[109:110], s[24:25], -v[210:211]
	v_fma_f64 v[238:239], v[109:110], s[4:5], v[111:112]
	v_fma_f64 v[210:211], v[109:110], s[24:25], v[210:211]
	v_fma_f64 v[236:237], v[109:110], s[4:5], -v[111:112]
	v_add_f64 v[216:217], v[216:217], v[143:144]
	v_add_f64 v[143:144], v[208:209], v[119:120]
	;; [unrolled: 1-line block ×7, first 2 shown]
	v_fma_f64 v[111:112], v[244:245], s[4:5], -v[115:116]
	v_add_f64 v[63:64], v[125:126], v[123:124]
	v_add_f64 v[123:124], v[131:132], v[137:138]
	;; [unrolled: 1-line block ×20, first 2 shown]
	v_fma_f64 v[109:110], v[244:245], s[4:5], v[115:116]
	v_fma_f64 v[115:116], v[244:245], s[24:25], v[248:249]
	v_add_f64 v[42:43], v[42:43], v[63:64]
	v_add_f64 v[93:94], v[93:94], v[133:134]
	;; [unrolled: 1-line block ×21, first 2 shown]
	v_lshrrev_b32_e32 v164, 2, v54
	v_add_f64 v[95:96], v[26:27], v[6:7]
	v_add_f64 v[99:100], v[24:25], v[4:5]
	;; [unrolled: 1-line block ×4, first 2 shown]
	v_mul_u32_u24_e32 v164, 44, v164
	v_add_f64 v[30:31], v[18:19], v[48:49]
	v_add_f64 v[26:27], v[32:33], v[46:47]
	;; [unrolled: 1-line block ×20, first 2 shown]
	v_or_b32_e32 v8, v164, v163
	v_add_f64 v[16:17], v[77:78], v[87:88]
	v_add_f64 v[38:39], v[115:116], v[101:102]
	;; [unrolled: 1-line block ×5, first 2 shown]
	v_lshl_add_u32 v8, v8, 4, 0
	ds_write_b128 v8, v[38:41] offset:64
	ds_write_b128 v8, v[34:37] offset:192
	;; [unrolled: 1-line block ×9, first 2 shown]
	ds_write_b128 v8, v[20:23]
	ds_write_b128 v8, v[10:13] offset:640
.LBB0_17:
	s_or_b32 exec_lo, exec_lo, s33
	v_and_b32_e32 v0, 0xff, v54
	v_mov_b32_e32 v2, 6
	s_waitcnt lgkmcnt(0)
	s_barrier
	buffer_gl0_inv
	v_mul_lo_u16 v0, 0xbb, v0
	v_add_nc_u32_e32 v11, v158, v161
	v_add_nc_u32_e32 v10, v159, v162
	v_add_nc_u32_e32 v12, v157, v160
	v_mov_b32_e32 v51, 0xdc0
	v_lshrrev_b16 v8, 13, v0
	v_and_b32_e32 v0, 0xff, v58
	v_lshlrev_b32_e32 v4, 2, v54
	v_mov_b32_e32 v5, 0
	s_mov_b32 s8, 0x134454ff
	v_mul_lo_u16 v1, v8, 44
	v_mul_lo_u16 v0, 0xbb, v0
	v_mul_u32_u24_sdwa v123, v8, v51 dst_sel:DWORD dst_unused:UNUSED_PAD src0_sel:WORD_0 src1_sel:DWORD
	v_lshlrev_b64 v[101:102], 4, v[4:5]
	v_lshlrev_b32_e32 v4, 2, v58
	v_sub_nc_u16 v6, v54, v1
	v_lshrrev_b16 v9, 13, v0
	s_mov_b32 s9, 0xbfee6f0e
	s_mov_b32 s15, 0x3fee6f0e
	;; [unrolled: 1-line block ×3, first 2 shown]
	v_lshlrev_b32_sdwa v0, v2, v6 dst_sel:DWORD dst_unused:UNUSED_PAD src0_sel:DWORD src1_sel:BYTE_0
	v_mul_lo_u16 v1, v9, 44
	v_mul_u32_u24_sdwa v51, v9, v51 dst_sel:DWORD dst_unused:UNUSED_PAD src0_sel:WORD_0 src1_sel:DWORD
	s_mov_b32 s6, 0x4755a5e
	s_mov_b32 s7, 0xbfe2cf23
	s_clause 0x1
	global_load_dwordx4 v[13:16], v0, s[12:13] offset:672
	global_load_dwordx4 v[17:20], v0, s[12:13] offset:688
	v_sub_nc_u16 v7, v58, v1
	s_clause 0x1
	global_load_dwordx4 v[21:24], v0, s[12:13] offset:704
	global_load_dwordx4 v[25:28], v0, s[12:13] offset:720
	s_mov_b32 s17, 0x3fe2cf23
	s_mov_b32 s16, s6
	;; [unrolled: 1-line block ×3, first 2 shown]
	v_lshlrev_b32_sdwa v0, v2, v7 dst_sel:DWORD dst_unused:UNUSED_PAD src0_sel:DWORD src1_sel:BYTE_0
	s_mov_b32 s5, 0x3fd3c6ef
	v_mov_b32_e32 v121, 4
	s_add_u32 s1, s12, 0x44a0
	s_clause 0x3
	global_load_dwordx4 v[29:32], v0, s[12:13] offset:672
	global_load_dwordx4 v[33:36], v0, s[12:13] offset:688
	;; [unrolled: 1-line block ×4, first 2 shown]
	ds_read_b128 v[45:48], v11
	ds_read_b128 v[63:66], v10
	ds_read_b128 v[67:70], v155 offset:10560
	ds_read_b128 v[71:74], v155 offset:14080
	ds_read_b128 v[0:3], v155
	ds_read_b128 v[75:78], v155 offset:5280
	ds_read_b128 v[79:82], v155 offset:8800
	ds_read_b128 v[83:86], v155 offset:12320
	ds_read_b128 v[87:90], v12
	ds_read_b128 v[91:94], v155 offset:15840
	s_waitcnt vmcnt(0) lgkmcnt(0)
	s_barrier
	buffer_gl0_inv
	v_mul_f64 v[49:50], v[47:48], v[15:16]
	v_mul_f64 v[15:16], v[45:46], v[15:16]
	;; [unrolled: 1-line block ×16, first 2 shown]
	v_fma_f64 v[45:46], v[45:46], v[13:14], v[49:50]
	v_fma_f64 v[13:14], v[47:48], v[13:14], -v[15:16]
	v_fma_f64 v[15:16], v[63:64], v[17:18], v[95:96]
	v_fma_f64 v[17:18], v[65:66], v[17:18], -v[19:20]
	;; [unrolled: 2-line block ×3, first 2 shown]
	v_fma_f64 v[47:48], v[73:74], v[25:26], -v[99:100]
	v_fma_f64 v[23:24], v[71:72], v[25:26], v[27:28]
	v_lshlrev_b64 v[49:50], 4, v[4:5]
	v_fma_f64 v[8:9], v[75:76], v[29:30], v[103:104]
	v_fma_f64 v[25:26], v[77:78], v[29:30], -v[31:32]
	v_fma_f64 v[27:28], v[79:80], v[33:34], v[105:106]
	v_fma_f64 v[29:30], v[81:82], v[33:34], -v[35:36]
	;; [unrolled: 2-line block ×4, first 2 shown]
	v_add_co_u32 v4, s0, s12, v101
	v_add_co_ci_u32_e64 v122, s0, s13, v102, s0
	v_add_f64 v[39:40], v[0:1], v[45:46]
	v_add_f64 v[75:76], v[2:3], v[13:14]
	v_add_f64 v[65:66], v[45:46], -v[15:16]
	v_add_f64 v[71:72], v[15:16], -v[45:46]
	v_add_f64 v[41:42], v[15:16], v[19:20]
	v_add_f64 v[77:78], v[17:18], v[21:22]
	;; [unrolled: 1-line block ×4, first 2 shown]
	v_add_f64 v[67:68], v[23:24], -v[19:20]
	v_add_f64 v[73:74], v[19:20], -v[23:24]
	v_add_f64 v[43:44], v[13:14], -v[47:48]
	v_add_f64 v[45:46], v[45:46], -v[23:24]
	v_add_f64 v[81:82], v[13:14], -v[17:18]
	v_add_f64 v[93:94], v[27:28], v[31:32]
	v_add_f64 v[101:102], v[29:30], v[33:34]
	;; [unrolled: 1-line block ×4, first 2 shown]
	v_add_f64 v[83:84], v[47:48], -v[21:22]
	v_add_f64 v[13:14], v[17:18], -v[13:14]
	;; [unrolled: 1-line block ×3, first 2 shown]
	v_add_f64 v[95:96], v[87:88], v[8:9]
	v_add_f64 v[115:116], v[89:90], v[25:26]
	v_add_f64 v[63:64], v[17:18], -v[21:22]
	v_add_f64 v[79:80], v[15:16], -v[19:20]
	;; [unrolled: 1-line block ×4, first 2 shown]
	v_fma_f64 v[41:42], v[41:42], -0.5, v[0:1]
	v_fma_f64 v[77:78], v[77:78], -0.5, v[2:3]
	;; [unrolled: 1-line block ×4, first 2 shown]
	v_add_f64 v[111:112], v[27:28], -v[8:9]
	v_add_f64 v[8:9], v[8:9], -v[35:36]
	v_add_f64 v[65:66], v[65:66], v[67:68]
	v_add_f64 v[103:104], v[29:30], -v[33:34]
	v_add_f64 v[109:110], v[35:36], -v[31:32]
	v_fma_f64 v[93:94], v[93:94], -0.5, v[87:88]
	v_fma_f64 v[67:68], v[101:102], -0.5, v[89:90]
	v_add_f64 v[117:118], v[27:28], -v[31:32]
	v_add_f64 v[15:16], v[39:40], v[15:16]
	v_fma_f64 v[39:40], v[97:98], -0.5, v[87:88]
	v_add_f64 v[71:72], v[71:72], v[73:74]
	v_fma_f64 v[73:74], v[105:106], -0.5, v[89:90]
	v_add_f64 v[17:18], v[75:76], v[17:18]
	v_add_f64 v[119:120], v[25:26], -v[29:30]
	v_add_f64 v[25:26], v[29:30], -v[25:26]
	v_add_f64 v[75:76], v[81:82], v[83:84]
	v_add_f64 v[81:82], v[13:14], v[91:92]
	;; [unrolled: 1-line block ×4, first 2 shown]
	v_fma_f64 v[29:30], v[43:44], s[8:9], v[41:42]
	v_fma_f64 v[91:92], v[45:46], s[14:15], v[77:78]
	v_add_f64 v[85:86], v[33:34], -v[37:38]
	v_fma_f64 v[41:42], v[43:44], s[14:15], v[41:42]
	v_fma_f64 v[89:90], v[63:64], s[14:15], v[0:1]
	v_fma_f64 v[95:96], v[79:80], s[8:9], v[2:3]
	v_fma_f64 v[0:1], v[63:64], s[8:9], v[0:1]
	v_fma_f64 v[2:3], v[79:80], s[14:15], v[2:3]
	v_fma_f64 v[77:78], v[45:46], s[8:9], v[77:78]
	v_add_f64 v[69:70], v[37:38], -v[33:34]
	v_fma_f64 v[97:98], v[99:100], s[8:9], v[93:94]
	v_fma_f64 v[105:106], v[8:9], s[14:15], v[67:68]
	v_add_f64 v[113:114], v[31:32], -v[35:36]
	v_add_f64 v[83:84], v[107:108], v[109:110]
	v_fma_f64 v[101:102], v[103:104], s[14:15], v[39:40]
	v_fma_f64 v[107:108], v[117:118], s[8:9], v[73:74]
	;; [unrolled: 1-line block ×6, first 2 shown]
	v_add_f64 v[15:16], v[15:16], v[19:20]
	v_add_f64 v[17:18], v[17:18], v[21:22]
	;; [unrolled: 1-line block ×4, first 2 shown]
	v_fma_f64 v[21:22], v[63:64], s[6:7], v[29:30]
	v_fma_f64 v[31:32], v[79:80], s[16:17], v[91:92]
	v_add_f64 v[85:86], v[25:26], v[85:86]
	v_fma_f64 v[25:26], v[63:64], s[16:17], v[41:42]
	v_fma_f64 v[27:28], v[43:44], s[6:7], v[89:90]
	;; [unrolled: 1-line block ×6, first 2 shown]
	v_add_f64 v[69:70], v[119:120], v[69:70]
	v_fma_f64 v[45:46], v[103:104], s[6:7], v[97:98]
	v_fma_f64 v[79:80], v[117:118], s[16:17], v[105:106]
	v_add_f64 v[87:88], v[111:112], v[113:114]
	v_fma_f64 v[77:78], v[99:100], s[6:7], v[101:102]
	v_fma_f64 v[89:90], v[8:9], s[16:17], v[107:108]
	;; [unrolled: 1-line block ×6, first 2 shown]
	v_add_f64 v[0:1], v[15:16], v[23:24]
	v_add_f64 v[2:3], v[17:18], v[47:48]
	;; [unrolled: 1-line block ×3, first 2 shown]
	v_fma_f64 v[17:18], v[65:66], s[4:5], v[21:22]
	v_fma_f64 v[19:20], v[75:76], s[4:5], v[31:32]
	v_add_f64 v[13:14], v[13:14], v[35:36]
	v_fma_f64 v[21:22], v[65:66], s[4:5], v[25:26]
	v_fma_f64 v[25:26], v[71:72], s[4:5], v[27:28]
	;; [unrolled: 1-line block ×6, first 2 shown]
	v_add_co_u32 v73, s0, 0xda0, v4
	v_fma_f64 v[33:34], v[83:84], s[4:5], v[45:46]
	v_fma_f64 v[35:36], v[69:70], s[4:5], v[79:80]
	;; [unrolled: 1-line block ×8, first 2 shown]
	v_add_co_ci_u32_e64 v74, s0, 0, v122, s0
	v_add_co_u32 v8, s0, 0x800, v4
	v_lshlrev_b32_sdwa v4, v121, v6 dst_sel:DWORD dst_unused:UNUSED_PAD src0_sel:DWORD src1_sel:BYTE_0
	v_add_co_ci_u32_e64 v9, s0, 0, v122, s0
	v_add_co_u32 v49, s0, s12, v49
	v_lshlrev_b32_sdwa v6, v121, v7 dst_sel:DWORD dst_unused:UNUSED_PAD src0_sel:DWORD src1_sel:BYTE_0
	v_add3_u32 v4, 0, v123, v4
	v_add_co_ci_u32_e64 v50, s0, s13, v50, s0
	v_add3_u32 v6, 0, v51, v6
	ds_write_b128 v4, v[0:3]
	ds_write_b128 v4, v[17:20] offset:704
	ds_write_b128 v4, v[25:28] offset:1408
	ds_write_b128 v4, v[29:32] offset:2112
	ds_write_b128 v4, v[21:24] offset:2816
	ds_write_b128 v6, v[13:16]
	ds_write_b128 v6, v[33:36] offset:704
	ds_write_b128 v6, v[41:44] offset:1408
	;; [unrolled: 1-line block ×4, first 2 shown]
	v_add_co_u32 v21, s0, 0x800, v49
	v_add_co_ci_u32_e64 v22, s0, 0, v50, s0
	v_add_co_u32 v33, s0, 0xda0, v49
	s_waitcnt lgkmcnt(0)
	s_barrier
	buffer_gl0_inv
	s_clause 0x3
	global_load_dwordx4 v[0:3], v[8:9], off offset:1440
	global_load_dwordx4 v[6:9], v[73:74], off offset:32
	;; [unrolled: 1-line block ×4, first 2 shown]
	v_add_co_ci_u32_e64 v34, s0, 0, v50, s0
	s_clause 0x3
	global_load_dwordx4 v[21:24], v[21:22], off offset:1440
	global_load_dwordx4 v[25:28], v[33:34], off offset:16
	;; [unrolled: 1-line block ×4, first 2 shown]
	ds_read_b128 v[37:40], v11
	ds_read_b128 v[41:44], v10
	ds_read_b128 v[45:48], v155 offset:10560
	ds_read_b128 v[63:66], v155 offset:14080
	;; [unrolled: 1-line block ×4, first 2 shown]
	ds_read_b128 v[75:78], v12
	ds_read_b128 v[79:82], v155 offset:12320
	ds_read_b128 v[83:86], v155 offset:15840
	ds_read_b128 v[87:90], v155
	s_waitcnt vmcnt(0) lgkmcnt(0)
	s_barrier
	buffer_gl0_inv
	v_sub_nc_u32_e32 v4, 0, v55
	v_mul_f64 v[49:50], v[39:40], v[2:3]
	v_mul_f64 v[2:3], v[37:38], v[2:3]
	;; [unrolled: 1-line block ×16, first 2 shown]
	v_fma_f64 v[37:38], v[37:38], v[0:1], v[49:50]
	v_fma_f64 v[0:1], v[39:40], v[0:1], -v[2:3]
	v_fma_f64 v[2:3], v[41:42], v[13:14], v[91:92]
	v_fma_f64 v[13:14], v[43:44], v[13:14], -v[15:16]
	;; [unrolled: 2-line block ×3, first 2 shown]
	v_fma_f64 v[39:40], v[65:66], v[17:18], -v[95:96]
	v_fma_f64 v[8:9], v[63:64], v[17:18], v[19:20]
	v_fma_f64 v[17:18], v[67:68], v[21:22], v[97:98]
	v_fma_f64 v[19:20], v[69:70], v[21:22], -v[23:24]
	v_fma_f64 v[21:22], v[71:72], v[25:26], v[99:100]
	v_fma_f64 v[23:24], v[73:74], v[25:26], -v[27:28]
	;; [unrolled: 2-line block ×4, first 2 shown]
	v_add_f64 v[33:34], v[87:88], v[37:38]
	v_add_f64 v[67:68], v[89:90], v[0:1]
	v_add_f64 v[45:46], v[37:38], -v[2:3]
	v_add_f64 v[63:64], v[2:3], -v[37:38]
	v_add_f64 v[35:36], v[2:3], v[15:16]
	v_add_f64 v[69:70], v[13:14], v[6:7]
	;; [unrolled: 1-line block ×4, first 2 shown]
	v_add_f64 v[47:48], v[8:9], -v[15:16]
	v_add_f64 v[41:42], v[0:1], -v[39:40]
	v_add_f64 v[37:38], v[37:38], -v[8:9]
	v_add_f64 v[73:74], v[0:1], -v[13:14]
	v_add_f64 v[85:86], v[21:22], v[25:26]
	v_add_f64 v[97:98], v[23:24], v[27:28]
	;; [unrolled: 1-line block ×4, first 2 shown]
	v_add_f64 v[0:1], v[13:14], -v[0:1]
	v_add_f64 v[83:84], v[6:7], -v[39:40]
	v_add_f64 v[91:92], v[75:76], v[17:18]
	v_add_f64 v[111:112], v[77:78], v[19:20]
	v_add_f64 v[43:44], v[13:14], -v[6:7]
	v_add_f64 v[65:66], v[15:16], -v[8:9]
	;; [unrolled: 1-line block ×6, first 2 shown]
	v_fma_f64 v[35:36], v[35:36], -0.5, v[87:88]
	v_fma_f64 v[69:70], v[69:70], -0.5, v[89:90]
	;; [unrolled: 1-line block ×4, first 2 shown]
	v_add_f64 v[107:108], v[21:22], -v[17:18]
	v_add_f64 v[17:18], v[17:18], -v[29:30]
	v_add_f64 v[45:46], v[45:46], v[47:48]
	v_add_f64 v[101:102], v[23:24], -v[27:28]
	v_fma_f64 v[85:86], v[85:86], -0.5, v[75:76]
	v_fma_f64 v[47:48], v[97:98], -0.5, v[77:78]
	v_add_f64 v[105:106], v[29:30], -v[25:26]
	v_add_f64 v[113:114], v[21:22], -v[25:26]
	v_add_f64 v[2:3], v[33:34], v[2:3]
	v_fma_f64 v[33:34], v[93:94], -0.5, v[75:76]
	v_fma_f64 v[75:76], v[99:100], -0.5, v[77:78]
	v_add_f64 v[13:14], v[67:68], v[13:14]
	v_add_f64 v[115:116], v[19:20], -v[23:24]
	v_add_f64 v[19:20], v[23:24], -v[19:20]
	;; [unrolled: 1-line block ×3, first 2 shown]
	v_add_f64 v[67:68], v[0:1], v[83:84]
	v_add_f64 v[0:1], v[91:92], v[21:22]
	;; [unrolled: 1-line block ×3, first 2 shown]
	v_fma_f64 v[23:24], v[41:42], s[8:9], v[35:36]
	v_fma_f64 v[83:84], v[37:38], s[14:15], v[69:70]
	v_add_f64 v[63:64], v[63:64], v[65:66]
	v_add_f64 v[65:66], v[73:74], v[79:80]
	v_fma_f64 v[35:36], v[41:42], s[14:15], v[35:36]
	v_fma_f64 v[79:80], v[43:44], s[14:15], v[49:50]
	;; [unrolled: 1-line block ×6, first 2 shown]
	v_add_f64 v[87:88], v[31:32], -v[27:28]
	v_fma_f64 v[93:94], v[95:96], s[8:9], v[85:86]
	v_fma_f64 v[99:100], v[17:18], s[14:15], v[47:48]
	v_add_f64 v[109:110], v[25:26], -v[29:30]
	v_add_f64 v[73:74], v[103:104], v[105:106]
	v_fma_f64 v[97:98], v[101:102], s[14:15], v[33:34]
	v_fma_f64 v[103:104], v[113:114], s[8:9], v[75:76]
	;; [unrolled: 1-line block ×6, first 2 shown]
	v_add_f64 v[2:3], v[2:3], v[15:16]
	v_add_f64 v[6:7], v[13:14], v[6:7]
	;; [unrolled: 1-line block ×5, first 2 shown]
	v_fma_f64 v[19:20], v[43:44], s[6:7], v[23:24]
	v_fma_f64 v[27:28], v[71:72], s[16:17], v[83:84]
	;; [unrolled: 1-line block ×8, first 2 shown]
	v_add_f64 v[87:88], v[115:116], v[87:88]
	v_fma_f64 v[43:44], v[101:102], s[6:7], v[93:94]
	v_fma_f64 v[79:80], v[113:114], s[16:17], v[99:100]
	v_add_f64 v[77:78], v[107:108], v[109:110]
	v_fma_f64 v[69:70], v[95:96], s[6:7], v[97:98]
	v_fma_f64 v[81:82], v[17:18], s[16:17], v[103:104]
	;; [unrolled: 1-line block ×6, first 2 shown]
	v_add_f64 v[0:1], v[2:3], v[8:9]
	v_add_f64 v[2:3], v[6:7], v[39:40]
	;; [unrolled: 1-line block ×4, first 2 shown]
	v_fma_f64 v[13:14], v[45:46], s[4:5], v[19:20]
	v_fma_f64 v[15:16], v[65:66], s[4:5], v[27:28]
	;; [unrolled: 1-line block ×16, first 2 shown]
	ds_write_b128 v155, v[0:3]
	ds_write_b128 v155, v[13:16] offset:3520
	ds_write_b128 v155, v[21:24] offset:7040
	;; [unrolled: 1-line block ×4, first 2 shown]
	ds_write_b128 v12, v[6:9]
	ds_write_b128 v12, v[29:32] offset:3520
	ds_write_b128 v12, v[37:40] offset:7040
	ds_write_b128 v12, v[41:44] offset:10560
	ds_write_b128 v12, v[33:36] offset:14080
	s_waitcnt lgkmcnt(0)
	s_barrier
	buffer_gl0_inv
	ds_read_b128 v[0:3], v155
	s_addc_u32 s4, s13, 0
	s_mov_b32 s5, exec_lo
                                        ; implicit-def: $vgpr6_vgpr7
                                        ; implicit-def: $vgpr8_vgpr9
	v_cmpx_ne_u32_e32 0, v54
	s_xor_b32 s5, exec_lo, s5
	s_cbranch_execz .LBB0_19
; %bb.18:
	v_mov_b32_e32 v55, v5
	ds_read_b128 v[13:16], v4 offset:17600
	v_lshlrev_b64 v[5:6], 4, v[54:55]
	v_add_co_u32 v5, s0, s1, v5
	v_add_co_ci_u32_e64 v6, s0, s4, v6, s0
	global_load_dwordx4 v[5:8], v[5:6], off
	s_waitcnt lgkmcnt(0)
	v_add_f64 v[17:18], v[0:1], -v[13:14]
	v_add_f64 v[19:20], v[2:3], v[15:16]
	v_add_f64 v[2:3], v[2:3], -v[15:16]
	v_add_f64 v[0:1], v[0:1], v[13:14]
	v_mul_f64 v[15:16], v[17:18], 0.5
	v_mul_f64 v[17:18], v[19:20], 0.5
	;; [unrolled: 1-line block ×3, first 2 shown]
	s_waitcnt vmcnt(0)
	v_mul_f64 v[13:14], v[15:16], v[7:8]
	v_fma_f64 v[19:20], v[17:18], v[7:8], v[2:3]
	v_fma_f64 v[2:3], v[17:18], v[7:8], -v[2:3]
	v_fma_f64 v[7:8], v[0:1], 0.5, v[13:14]
	v_fma_f64 v[0:1], v[0:1], 0.5, -v[13:14]
	v_fma_f64 v[13:14], -v[5:6], v[15:16], v[19:20]
	v_fma_f64 v[2:3], -v[5:6], v[15:16], v[2:3]
	ds_write_b64 v155, v[13:14] offset:8
	ds_write_b64 v4, v[2:3] offset:17608
	v_fma_f64 v[8:9], v[17:18], v[5:6], v[7:8]
	v_fma_f64 v[6:7], -v[17:18], v[5:6], v[0:1]
                                        ; implicit-def: $vgpr0_vgpr1
.LBB0_19:
	s_or_saveexec_b32 s0, s5
	v_sub_nc_u32_e32 v5, 0, v59
	s_xor_b32 exec_lo, exec_lo, s0
	s_cbranch_execz .LBB0_21
; %bb.20:
	s_mov_b32 s6, 0
	v_mov_b32_e32 v15, 0
	s_mov_b32 s7, s6
	v_mov_b32_e32 v6, s6
	v_mov_b32_e32 v7, s7
	s_waitcnt lgkmcnt(0)
	v_add_f64 v[8:9], v[0:1], v[2:3]
	ds_write_b64 v155, v[6:7] offset:8
	ds_write_b64 v4, v[6:7] offset:17608
	ds_read_b64 v[13:14], v15 offset:8808
	v_add_f64 v[6:7], v[0:1], -v[2:3]
	s_waitcnt lgkmcnt(0)
	v_xor_b32_e32 v14, 0x80000000, v14
	ds_write_b64 v15, v[13:14] offset:8808
.LBB0_21:
	s_or_b32 exec_lo, exec_lo, s0
	v_mov_b32_e32 v59, 0
	ds_write_b64 v155, v[8:9]
	ds_write_b64 v4, v[6:7] offset:17600
	s_waitcnt lgkmcnt(2)
	v_lshlrev_b64 v[0:1], 4, v[58:59]
	v_mov_b32_e32 v63, v59
	v_lshlrev_b64 v[13:14], 4, v[62:63]
	v_add_co_u32 v0, s0, s1, v0
	v_add_co_ci_u32_e64 v1, s0, s4, v1, s0
	v_mov_b32_e32 v62, v59
	v_add_co_u32 v13, s0, s1, v13
	global_load_dwordx4 v[0:3], v[0:1], off
	v_add_co_ci_u32_e64 v14, s0, s4, v14, s0
	v_lshlrev_b64 v[21:22], 4, v[61:62]
	v_mov_b32_e32 v61, v59
	global_load_dwordx4 v[13:16], v[13:14], off
	ds_read_b128 v[6:9], v12
	ds_read_b128 v[17:20], v4 offset:15840
	v_add_co_u32 v21, s0, s1, v21
	v_add_co_ci_u32_e64 v22, s0, s4, v22, s0
	global_load_dwordx4 v[21:24], v[21:22], off
	s_waitcnt lgkmcnt(0)
	v_add_f64 v[25:26], v[6:7], -v[17:18]
	v_add_f64 v[27:28], v[8:9], v[19:20]
	v_add_f64 v[8:9], v[8:9], -v[19:20]
	v_add_f64 v[6:7], v[6:7], v[17:18]
	v_mul_f64 v[19:20], v[25:26], 0.5
	v_mul_f64 v[25:26], v[27:28], 0.5
	;; [unrolled: 1-line block ×3, first 2 shown]
	s_waitcnt vmcnt(2)
	v_mul_f64 v[17:18], v[19:20], v[2:3]
	v_fma_f64 v[27:28], v[25:26], v[2:3], v[8:9]
	v_fma_f64 v[2:3], v[25:26], v[2:3], -v[8:9]
	v_fma_f64 v[8:9], v[6:7], 0.5, v[17:18]
	v_fma_f64 v[6:7], v[6:7], 0.5, -v[17:18]
	v_fma_f64 v[17:18], -v[0:1], v[19:20], v[27:28]
	v_fma_f64 v[2:3], -v[0:1], v[19:20], v[2:3]
	v_lshlrev_b64 v[19:20], 4, v[60:61]
	v_fma_f64 v[8:9], v[25:26], v[0:1], v[8:9]
	v_fma_f64 v[0:1], -v[25:26], v[0:1], v[6:7]
	ds_write_b64 v12, v[17:18] offset:8
	ds_write_b64 v4, v[2:3] offset:15848
	ds_write_b64 v12, v[8:9]
	ds_write_b64 v4, v[0:1] offset:15840
	v_add_co_u32 v17, s0, s1, v19
	v_add_co_ci_u32_e64 v18, s0, s4, v20, s0
	ds_read_b128 v[0:3], v11
	ds_read_b128 v[6:9], v4 offset:14080
	global_load_dwordx4 v[17:20], v[17:18], off
	s_waitcnt lgkmcnt(0)
	v_add_f64 v[25:26], v[0:1], -v[6:7]
	v_add_f64 v[27:28], v[2:3], v[8:9]
	v_add_f64 v[2:3], v[2:3], -v[8:9]
	v_add_f64 v[0:1], v[0:1], v[6:7]
	v_mul_f64 v[8:9], v[25:26], 0.5
	v_mul_f64 v[25:26], v[27:28], 0.5
	;; [unrolled: 1-line block ×3, first 2 shown]
	s_waitcnt vmcnt(2)
	v_mul_f64 v[6:7], v[8:9], v[15:16]
	v_fma_f64 v[27:28], v[25:26], v[15:16], v[2:3]
	v_fma_f64 v[2:3], v[25:26], v[15:16], -v[2:3]
	v_fma_f64 v[15:16], v[0:1], 0.5, v[6:7]
	v_fma_f64 v[0:1], v[0:1], 0.5, -v[6:7]
	v_fma_f64 v[6:7], -v[13:14], v[8:9], v[27:28]
	v_fma_f64 v[2:3], -v[13:14], v[8:9], v[2:3]
	v_fma_f64 v[8:9], v[25:26], v[13:14], v[15:16]
	v_fma_f64 v[0:1], -v[25:26], v[13:14], v[0:1]
	v_add_nc_u32_e32 v25, v156, v5
	ds_write_b64 v11, v[6:7] offset:8
	ds_write_b64 v4, v[2:3] offset:14088
	ds_write_b64 v11, v[8:9]
	ds_write_b64 v4, v[0:1] offset:14080
	ds_read_b128 v[0:3], v25
	ds_read_b128 v[5:8], v4 offset:12320
	s_waitcnt lgkmcnt(0)
	v_add_f64 v[11:12], v[0:1], -v[5:6]
	v_add_f64 v[13:14], v[2:3], v[7:8]
	v_add_f64 v[2:3], v[2:3], -v[7:8]
	v_add_f64 v[0:1], v[0:1], v[5:6]
	v_mul_f64 v[7:8], v[11:12], 0.5
	v_mul_f64 v[11:12], v[13:14], 0.5
	;; [unrolled: 1-line block ×3, first 2 shown]
	s_waitcnt vmcnt(1)
	v_mul_f64 v[5:6], v[7:8], v[23:24]
	v_fma_f64 v[13:14], v[11:12], v[23:24], v[2:3]
	v_fma_f64 v[2:3], v[11:12], v[23:24], -v[2:3]
	v_fma_f64 v[15:16], v[0:1], 0.5, v[5:6]
	v_fma_f64 v[0:1], v[0:1], 0.5, -v[5:6]
	v_fma_f64 v[5:6], -v[21:22], v[7:8], v[13:14]
	v_fma_f64 v[2:3], -v[21:22], v[7:8], v[2:3]
	v_fma_f64 v[7:8], v[11:12], v[21:22], v[15:16]
	v_fma_f64 v[0:1], -v[11:12], v[21:22], v[0:1]
	ds_write_b64 v25, v[5:6] offset:8
	ds_write_b64 v4, v[2:3] offset:12328
	ds_write_b64 v25, v[7:8]
	ds_write_b64 v4, v[0:1] offset:12320
	ds_read_b128 v[0:3], v10
	ds_read_b128 v[5:8], v4 offset:10560
	s_waitcnt lgkmcnt(0)
	v_add_f64 v[11:12], v[0:1], -v[5:6]
	v_add_f64 v[13:14], v[2:3], v[7:8]
	v_add_f64 v[2:3], v[2:3], -v[7:8]
	v_add_f64 v[0:1], v[0:1], v[5:6]
	v_mul_f64 v[7:8], v[11:12], 0.5
	v_mul_f64 v[11:12], v[13:14], 0.5
	;; [unrolled: 1-line block ×3, first 2 shown]
	s_waitcnt vmcnt(0)
	v_mul_f64 v[5:6], v[7:8], v[19:20]
	v_fma_f64 v[13:14], v[11:12], v[19:20], v[2:3]
	v_fma_f64 v[2:3], v[11:12], v[19:20], -v[2:3]
	v_fma_f64 v[15:16], v[0:1], 0.5, v[5:6]
	v_fma_f64 v[0:1], v[0:1], 0.5, -v[5:6]
	v_fma_f64 v[5:6], -v[17:18], v[7:8], v[13:14]
	v_fma_f64 v[2:3], -v[17:18], v[7:8], v[2:3]
	v_fma_f64 v[7:8], v[11:12], v[17:18], v[15:16]
	v_fma_f64 v[0:1], -v[11:12], v[17:18], v[0:1]
	ds_write_b64 v10, v[5:6] offset:8
	ds_write_b64 v4, v[2:3] offset:10568
	ds_write_b64 v10, v[7:8]
	ds_write_b64 v4, v[0:1] offset:10560
	s_waitcnt lgkmcnt(0)
	s_barrier
	buffer_gl0_inv
	s_and_saveexec_b32 s0, vcc_lo
	s_cbranch_execz .LBB0_24
; %bb.22:
	v_mul_lo_u32 v2, s3, v56
	v_mul_lo_u32 v3, s2, v57
	v_mad_u64_u32 v[0:1], null, s2, v56, 0
	v_lshl_add_u32 v26, v54, 4, 0
	v_mov_b32_e32 v55, v59
	v_lshlrev_b64 v[10:11], 4, v[52:53]
	v_add_nc_u32_e32 v58, 0x6e, v54
	v_add3_u32 v1, v1, v3, v2
	ds_read_b128 v[2:5], v26
	ds_read_b128 v[6:9], v26 offset:1760
	v_lshlrev_b64 v[12:13], 4, v[54:55]
	v_lshlrev_b64 v[14:15], 4, v[58:59]
	v_add_nc_u32_e32 v58, 0xdc, v54
	v_lshlrev_b64 v[0:1], 4, v[0:1]
	v_add_co_u32 v0, vcc_lo, s10, v0
	v_add_co_ci_u32_e32 v1, vcc_lo, s11, v1, vcc_lo
	v_add_co_u32 v0, vcc_lo, v0, v10
	v_add_co_ci_u32_e32 v1, vcc_lo, v1, v11, vcc_lo
	;; [unrolled: 2-line block ×4, first 2 shown]
	v_lshlrev_b64 v[14:15], 4, v[58:59]
	v_add_nc_u32_e32 v58, 0x14a, v54
	s_waitcnt lgkmcnt(1)
	global_store_dwordx4 v[10:11], v[2:5], off
	s_waitcnt lgkmcnt(0)
	global_store_dwordx4 v[12:13], v[6:9], off
	ds_read_b128 v[2:5], v26 offset:3520
	ds_read_b128 v[6:9], v26 offset:5280
	v_lshlrev_b64 v[18:19], 4, v[58:59]
	v_add_nc_u32_e32 v58, 0x1b8, v54
	v_add_co_u32 v20, vcc_lo, v0, v14
	v_add_co_ci_u32_e32 v21, vcc_lo, v1, v15, vcc_lo
	ds_read_b128 v[10:13], v26 offset:7040
	ds_read_b128 v[14:17], v26 offset:8800
	v_lshlrev_b64 v[22:23], 4, v[58:59]
	v_add_nc_u32_e32 v58, 0x226, v54
	v_add_co_u32 v18, vcc_lo, v0, v18
	v_add_co_ci_u32_e32 v19, vcc_lo, v1, v19, vcc_lo
	v_lshlrev_b64 v[24:25], 4, v[58:59]
	v_add_nc_u32_e32 v58, 0x294, v54
	v_add_co_u32 v22, vcc_lo, v0, v22
	s_waitcnt lgkmcnt(3)
	global_store_dwordx4 v[20:21], v[2:5], off
	v_add_co_ci_u32_e32 v23, vcc_lo, v1, v23, vcc_lo
	v_lshlrev_b64 v[2:3], 4, v[58:59]
	v_add_nc_u32_e32 v58, 0x302, v54
	v_add_co_u32 v24, vcc_lo, v0, v24
	v_add_co_ci_u32_e32 v25, vcc_lo, v1, v25, vcc_lo
	v_lshlrev_b64 v[20:21], 4, v[58:59]
	v_add_nc_u32_e32 v58, 0x370, v54
	s_waitcnt lgkmcnt(2)
	global_store_dwordx4 v[18:19], v[6:9], off
	s_waitcnt lgkmcnt(1)
	global_store_dwordx4 v[22:23], v[10:13], off
	;; [unrolled: 2-line block ×3, first 2 shown]
	v_add_co_u32 v18, vcc_lo, v0, v2
	v_add_co_ci_u32_e32 v19, vcc_lo, v1, v3, vcc_lo
	ds_read_b128 v[2:5], v26 offset:10560
	ds_read_b128 v[6:9], v26 offset:12320
	;; [unrolled: 1-line block ×4, first 2 shown]
	v_lshlrev_b64 v[22:23], 4, v[58:59]
	v_add_nc_u32_e32 v58, 0x3de, v54
	v_add_co_u32 v20, vcc_lo, v0, v20
	v_add_co_ci_u32_e32 v21, vcc_lo, v1, v21, vcc_lo
	v_lshlrev_b64 v[24:25], 4, v[58:59]
	v_add_co_u32 v22, vcc_lo, v0, v22
	v_add_co_ci_u32_e32 v23, vcc_lo, v1, v23, vcc_lo
	v_add_co_u32 v24, vcc_lo, v0, v24
	v_add_co_ci_u32_e32 v25, vcc_lo, v1, v25, vcc_lo
	v_cmp_eq_u32_e32 vcc_lo, 0x6d, v54
	s_waitcnt lgkmcnt(3)
	global_store_dwordx4 v[18:19], v[2:5], off
	s_waitcnt lgkmcnt(2)
	global_store_dwordx4 v[20:21], v[6:9], off
	;; [unrolled: 2-line block ×4, first 2 shown]
	s_and_b32 exec_lo, exec_lo, vcc_lo
	s_cbranch_execz .LBB0_24
; %bb.23:
	v_mov_b32_e32 v2, 0
	v_add_co_u32 v0, vcc_lo, 0x4000, v0
	v_add_co_ci_u32_e32 v1, vcc_lo, 0, v1, vcc_lo
	ds_read_b128 v[2:5], v2 offset:17600
	s_waitcnt lgkmcnt(0)
	global_store_dwordx4 v[0:1], v[2:5], off offset:1216
.LBB0_24:
	s_endpgm
	.section	.rodata,"a",@progbits
	.p2align	6, 0x0
	.amdhsa_kernel fft_rtc_back_len1100_factors_2_2_11_5_5_wgs_110_tpt_110_dp_op_CI_CI_unitstride_sbrr_R2C_dirReg
		.amdhsa_group_segment_fixed_size 0
		.amdhsa_private_segment_fixed_size 0
		.amdhsa_kernarg_size 104
		.amdhsa_user_sgpr_count 6
		.amdhsa_user_sgpr_private_segment_buffer 1
		.amdhsa_user_sgpr_dispatch_ptr 0
		.amdhsa_user_sgpr_queue_ptr 0
		.amdhsa_user_sgpr_kernarg_segment_ptr 1
		.amdhsa_user_sgpr_dispatch_id 0
		.amdhsa_user_sgpr_flat_scratch_init 0
		.amdhsa_user_sgpr_private_segment_size 0
		.amdhsa_wavefront_size32 1
		.amdhsa_uses_dynamic_stack 0
		.amdhsa_system_sgpr_private_segment_wavefront_offset 0
		.amdhsa_system_sgpr_workgroup_id_x 1
		.amdhsa_system_sgpr_workgroup_id_y 0
		.amdhsa_system_sgpr_workgroup_id_z 0
		.amdhsa_system_sgpr_workgroup_info 0
		.amdhsa_system_vgpr_workitem_id 0
		.amdhsa_next_free_vgpr 250
		.amdhsa_next_free_sgpr 34
		.amdhsa_reserve_vcc 1
		.amdhsa_reserve_flat_scratch 0
		.amdhsa_float_round_mode_32 0
		.amdhsa_float_round_mode_16_64 0
		.amdhsa_float_denorm_mode_32 3
		.amdhsa_float_denorm_mode_16_64 3
		.amdhsa_dx10_clamp 1
		.amdhsa_ieee_mode 1
		.amdhsa_fp16_overflow 0
		.amdhsa_workgroup_processor_mode 1
		.amdhsa_memory_ordered 1
		.amdhsa_forward_progress 0
		.amdhsa_shared_vgpr_count 0
		.amdhsa_exception_fp_ieee_invalid_op 0
		.amdhsa_exception_fp_denorm_src 0
		.amdhsa_exception_fp_ieee_div_zero 0
		.amdhsa_exception_fp_ieee_overflow 0
		.amdhsa_exception_fp_ieee_underflow 0
		.amdhsa_exception_fp_ieee_inexact 0
		.amdhsa_exception_int_div_zero 0
	.end_amdhsa_kernel
	.text
.Lfunc_end0:
	.size	fft_rtc_back_len1100_factors_2_2_11_5_5_wgs_110_tpt_110_dp_op_CI_CI_unitstride_sbrr_R2C_dirReg, .Lfunc_end0-fft_rtc_back_len1100_factors_2_2_11_5_5_wgs_110_tpt_110_dp_op_CI_CI_unitstride_sbrr_R2C_dirReg
                                        ; -- End function
	.section	.AMDGPU.csdata,"",@progbits
; Kernel info:
; codeLenInByte = 11220
; NumSgprs: 36
; NumVgprs: 250
; ScratchSize: 0
; MemoryBound: 0
; FloatMode: 240
; IeeeMode: 1
; LDSByteSize: 0 bytes/workgroup (compile time only)
; SGPRBlocks: 4
; VGPRBlocks: 31
; NumSGPRsForWavesPerEU: 36
; NumVGPRsForWavesPerEU: 250
; Occupancy: 4
; WaveLimiterHint : 1
; COMPUTE_PGM_RSRC2:SCRATCH_EN: 0
; COMPUTE_PGM_RSRC2:USER_SGPR: 6
; COMPUTE_PGM_RSRC2:TRAP_HANDLER: 0
; COMPUTE_PGM_RSRC2:TGID_X_EN: 1
; COMPUTE_PGM_RSRC2:TGID_Y_EN: 0
; COMPUTE_PGM_RSRC2:TGID_Z_EN: 0
; COMPUTE_PGM_RSRC2:TIDIG_COMP_CNT: 0
	.text
	.p2alignl 6, 3214868480
	.fill 48, 4, 3214868480
	.type	__hip_cuid_ff32ce54d2655e84,@object ; @__hip_cuid_ff32ce54d2655e84
	.section	.bss,"aw",@nobits
	.globl	__hip_cuid_ff32ce54d2655e84
__hip_cuid_ff32ce54d2655e84:
	.byte	0                               ; 0x0
	.size	__hip_cuid_ff32ce54d2655e84, 1

	.ident	"AMD clang version 19.0.0git (https://github.com/RadeonOpenCompute/llvm-project roc-6.4.0 25133 c7fe45cf4b819c5991fe208aaa96edf142730f1d)"
	.section	".note.GNU-stack","",@progbits
	.addrsig
	.addrsig_sym __hip_cuid_ff32ce54d2655e84
	.amdgpu_metadata
---
amdhsa.kernels:
  - .args:
      - .actual_access:  read_only
        .address_space:  global
        .offset:         0
        .size:           8
        .value_kind:     global_buffer
      - .offset:         8
        .size:           8
        .value_kind:     by_value
      - .actual_access:  read_only
        .address_space:  global
        .offset:         16
        .size:           8
        .value_kind:     global_buffer
      - .actual_access:  read_only
        .address_space:  global
        .offset:         24
        .size:           8
        .value_kind:     global_buffer
      - .actual_access:  read_only
        .address_space:  global
        .offset:         32
        .size:           8
        .value_kind:     global_buffer
      - .offset:         40
        .size:           8
        .value_kind:     by_value
      - .actual_access:  read_only
        .address_space:  global
        .offset:         48
        .size:           8
        .value_kind:     global_buffer
      - .actual_access:  read_only
        .address_space:  global
        .offset:         56
        .size:           8
        .value_kind:     global_buffer
      - .offset:         64
        .size:           4
        .value_kind:     by_value
      - .actual_access:  read_only
        .address_space:  global
        .offset:         72
        .size:           8
        .value_kind:     global_buffer
      - .actual_access:  read_only
        .address_space:  global
        .offset:         80
        .size:           8
        .value_kind:     global_buffer
      - .actual_access:  read_only
        .address_space:  global
        .offset:         88
        .size:           8
        .value_kind:     global_buffer
      - .actual_access:  write_only
        .address_space:  global
        .offset:         96
        .size:           8
        .value_kind:     global_buffer
    .group_segment_fixed_size: 0
    .kernarg_segment_align: 8
    .kernarg_segment_size: 104
    .language:       OpenCL C
    .language_version:
      - 2
      - 0
    .max_flat_workgroup_size: 110
    .name:           fft_rtc_back_len1100_factors_2_2_11_5_5_wgs_110_tpt_110_dp_op_CI_CI_unitstride_sbrr_R2C_dirReg
    .private_segment_fixed_size: 0
    .sgpr_count:     36
    .sgpr_spill_count: 0
    .symbol:         fft_rtc_back_len1100_factors_2_2_11_5_5_wgs_110_tpt_110_dp_op_CI_CI_unitstride_sbrr_R2C_dirReg.kd
    .uniform_work_group_size: 1
    .uses_dynamic_stack: false
    .vgpr_count:     250
    .vgpr_spill_count: 0
    .wavefront_size: 32
    .workgroup_processor_mode: 1
amdhsa.target:   amdgcn-amd-amdhsa--gfx1030
amdhsa.version:
  - 1
  - 2
...

	.end_amdgpu_metadata
